;; amdgpu-corpus repo=ROCm/rocFFT kind=compiled arch=gfx950 opt=O3
	.text
	.amdgcn_target "amdgcn-amd-amdhsa--gfx950"
	.amdhsa_code_object_version 6
	.protected	fft_rtc_fwd_len400_factors_4_10_10_wgs_120_tpt_40_halfLds_dp_op_CI_CI_unitstride_sbrr_C2R_dirReg ; -- Begin function fft_rtc_fwd_len400_factors_4_10_10_wgs_120_tpt_40_halfLds_dp_op_CI_CI_unitstride_sbrr_C2R_dirReg
	.globl	fft_rtc_fwd_len400_factors_4_10_10_wgs_120_tpt_40_halfLds_dp_op_CI_CI_unitstride_sbrr_C2R_dirReg
	.p2align	8
	.type	fft_rtc_fwd_len400_factors_4_10_10_wgs_120_tpt_40_halfLds_dp_op_CI_CI_unitstride_sbrr_C2R_dirReg,@function
fft_rtc_fwd_len400_factors_4_10_10_wgs_120_tpt_40_halfLds_dp_op_CI_CI_unitstride_sbrr_C2R_dirReg: ; @fft_rtc_fwd_len400_factors_4_10_10_wgs_120_tpt_40_halfLds_dp_op_CI_CI_unitstride_sbrr_C2R_dirReg
; %bb.0:
	s_load_dwordx4 s[4:7], s[0:1], 0x58
	s_load_dwordx4 s[8:11], s[0:1], 0x0
	;; [unrolled: 1-line block ×3, first 2 shown]
	v_mul_u32_u24_e32 v1, 0x667, v0
	v_lshrrev_b32_e32 v2, 16, v1
	v_mad_u64_u32 v[4:5], s[2:3], s2, 3, v[2:3]
	v_mov_b32_e32 v6, 0
	v_mov_b32_e32 v5, v6
	s_waitcnt lgkmcnt(0)
	v_cmp_lt_u64_e64 s[2:3], s[10:11], 2
	v_mov_b64_e32 v[2:3], 0
	s_and_b64 vcc, exec, s[2:3]
	v_mov_b64_e32 v[16:17], v[2:3]
	v_mov_b64_e32 v[18:19], v[4:5]
	s_cbranch_vccnz .LBB0_8
; %bb.1:
	s_load_dwordx2 s[2:3], s[0:1], 0x10
	s_add_u32 s16, s14, 8
	s_addc_u32 s17, s15, 0
	s_add_u32 s18, s12, 8
	s_addc_u32 s19, s13, 0
	s_waitcnt lgkmcnt(0)
	s_add_u32 s20, s2, 8
	v_mov_b64_e32 v[2:3], 0
	s_addc_u32 s21, s3, 0
	s_mov_b64 s[22:23], 1
	v_mov_b64_e32 v[16:17], v[2:3]
	v_mov_b64_e32 v[8:9], v[4:5]
.LBB0_2:                                ; =>This Inner Loop Header: Depth=1
	s_load_dwordx2 s[24:25], s[20:21], 0x0
                                        ; implicit-def: $vgpr18_vgpr19
	s_waitcnt lgkmcnt(0)
	v_or_b32_e32 v7, s25, v9
	v_cmp_ne_u64_e32 vcc, 0, v[6:7]
	s_and_saveexec_b64 s[2:3], vcc
	s_xor_b64 s[26:27], exec, s[2:3]
	s_cbranch_execz .LBB0_4
; %bb.3:                                ;   in Loop: Header=BB0_2 Depth=1
	v_cvt_f32_u32_e32 v1, s24
	v_cvt_f32_u32_e32 v5, s25
	s_sub_u32 s2, 0, s24
	s_subb_u32 s3, 0, s25
	v_fmac_f32_e32 v1, 0x4f800000, v5
	v_rcp_f32_e32 v1, v1
	s_nop 0
	v_mul_f32_e32 v1, 0x5f7ffffc, v1
	v_mul_f32_e32 v5, 0x2f800000, v1
	v_trunc_f32_e32 v5, v5
	v_fmac_f32_e32 v1, 0xcf800000, v5
	v_cvt_u32_f32_e32 v5, v5
	v_cvt_u32_f32_e32 v1, v1
	v_mul_lo_u32 v7, s2, v5
	v_mul_hi_u32 v10, s2, v1
	v_mul_lo_u32 v11, s3, v1
	v_add_u32_e32 v7, v10, v7
	v_mul_lo_u32 v14, s2, v1
	v_add_u32_e32 v7, v7, v11
	v_mul_hi_u32 v10, v1, v14
	v_mul_hi_u32 v13, v1, v7
	v_mul_lo_u32 v12, v1, v7
	v_mov_b32_e32 v11, v6
	v_lshl_add_u64 v[10:11], v[10:11], 0, v[12:13]
	v_mul_hi_u32 v13, v5, v14
	v_mul_lo_u32 v14, v5, v14
	v_add_co_u32_e32 v10, vcc, v10, v14
	v_mul_hi_u32 v12, v5, v7
	s_nop 0
	v_addc_co_u32_e32 v10, vcc, v11, v13, vcc
	v_mov_b32_e32 v11, v6
	s_nop 0
	v_addc_co_u32_e32 v13, vcc, 0, v12, vcc
	v_mul_lo_u32 v12, v5, v7
	v_lshl_add_u64 v[10:11], v[10:11], 0, v[12:13]
	v_add_co_u32_e32 v1, vcc, v1, v10
	v_mul_hi_u32 v10, s2, v1
	s_nop 0
	v_addc_co_u32_e32 v5, vcc, v5, v11, vcc
	v_mul_lo_u32 v7, s2, v5
	v_add_u32_e32 v7, v10, v7
	v_mul_lo_u32 v10, s3, v1
	v_add_u32_e32 v7, v7, v10
	v_mul_lo_u32 v12, s2, v1
	v_mul_hi_u32 v15, v5, v12
	v_mul_lo_u32 v18, v5, v12
	v_mul_hi_u32 v11, v1, v7
	;; [unrolled: 2-line block ×3, first 2 shown]
	v_mov_b32_e32 v13, v6
	v_lshl_add_u64 v[10:11], v[12:13], 0, v[10:11]
	v_add_co_u32_e32 v10, vcc, v10, v18
	v_mul_hi_u32 v14, v5, v7
	s_nop 0
	v_addc_co_u32_e32 v10, vcc, v11, v15, vcc
	v_mul_lo_u32 v12, v5, v7
	s_nop 0
	v_addc_co_u32_e32 v13, vcc, 0, v14, vcc
	v_mov_b32_e32 v11, v6
	v_lshl_add_u64 v[10:11], v[10:11], 0, v[12:13]
	v_add_co_u32_e32 v1, vcc, v1, v10
	v_mul_hi_u32 v12, v8, v1
	s_nop 0
	v_addc_co_u32_e32 v5, vcc, v5, v11, vcc
	v_mad_u64_u32 v[10:11], s[2:3], v8, v5, 0
	v_mov_b32_e32 v13, v6
	v_lshl_add_u64 v[10:11], v[12:13], 0, v[10:11]
	v_mad_u64_u32 v[14:15], s[2:3], v9, v1, 0
	v_add_co_u32_e32 v1, vcc, v10, v14
	v_mad_u64_u32 v[12:13], s[2:3], v9, v5, 0
	s_nop 0
	v_addc_co_u32_e32 v10, vcc, v11, v15, vcc
	v_mov_b32_e32 v11, v6
	s_nop 0
	v_addc_co_u32_e32 v13, vcc, 0, v13, vcc
	v_lshl_add_u64 v[10:11], v[10:11], 0, v[12:13]
	v_mul_lo_u32 v1, s25, v10
	v_mul_lo_u32 v5, s24, v11
	v_mad_u64_u32 v[12:13], s[2:3], s24, v10, 0
	v_add3_u32 v1, v13, v5, v1
	v_sub_u32_e32 v5, v9, v1
	v_mov_b32_e32 v7, s25
	v_sub_co_u32_e32 v18, vcc, v8, v12
	v_lshl_add_u64 v[14:15], v[10:11], 0, 1
	s_nop 0
	v_subb_co_u32_e64 v5, s[2:3], v5, v7, vcc
	v_subrev_co_u32_e64 v7, s[2:3], s24, v18
	v_subb_co_u32_e32 v1, vcc, v9, v1, vcc
	s_nop 0
	v_subbrev_co_u32_e64 v5, s[2:3], 0, v5, s[2:3]
	v_cmp_le_u32_e64 s[2:3], s25, v5
	v_cmp_le_u32_e32 vcc, s25, v1
	s_nop 0
	v_cndmask_b32_e64 v12, 0, -1, s[2:3]
	v_cmp_le_u32_e64 s[2:3], s24, v7
	s_nop 1
	v_cndmask_b32_e64 v7, 0, -1, s[2:3]
	v_cmp_eq_u32_e64 s[2:3], s25, v5
	s_nop 1
	v_cndmask_b32_e64 v5, v12, v7, s[2:3]
	v_lshl_add_u64 v[12:13], v[10:11], 0, 2
	v_cmp_ne_u32_e64 s[2:3], 0, v5
	v_cndmask_b32_e64 v7, 0, -1, vcc
	v_cmp_le_u32_e32 vcc, s24, v18
	v_cndmask_b32_e64 v5, v15, v13, s[2:3]
	s_nop 0
	v_cndmask_b32_e64 v13, 0, -1, vcc
	v_cmp_eq_u32_e32 vcc, s25, v1
	s_nop 1
	v_cndmask_b32_e32 v1, v7, v13, vcc
	v_cmp_ne_u32_e32 vcc, 0, v1
	v_cndmask_b32_e64 v1, v14, v12, s[2:3]
	s_nop 0
	v_cndmask_b32_e32 v19, v11, v5, vcc
	v_cndmask_b32_e32 v18, v10, v1, vcc
.LBB0_4:                                ;   in Loop: Header=BB0_2 Depth=1
	s_andn2_saveexec_b64 s[2:3], s[26:27]
	s_cbranch_execz .LBB0_6
; %bb.5:                                ;   in Loop: Header=BB0_2 Depth=1
	v_cvt_f32_u32_e32 v1, s24
	s_sub_i32 s26, 0, s24
	v_mov_b32_e32 v19, v6
	v_rcp_iflag_f32_e32 v1, v1
	s_nop 0
	v_mul_f32_e32 v1, 0x4f7ffffe, v1
	v_cvt_u32_f32_e32 v1, v1
	v_mul_lo_u32 v5, s26, v1
	v_mul_hi_u32 v5, v1, v5
	v_add_u32_e32 v1, v1, v5
	v_mul_hi_u32 v1, v8, v1
	v_mul_lo_u32 v5, v1, s24
	v_sub_u32_e32 v5, v8, v5
	v_add_u32_e32 v7, 1, v1
	v_subrev_u32_e32 v10, s24, v5
	v_cmp_le_u32_e32 vcc, s24, v5
	s_nop 1
	v_cndmask_b32_e32 v5, v5, v10, vcc
	v_cndmask_b32_e32 v1, v1, v7, vcc
	v_add_u32_e32 v7, 1, v1
	v_cmp_le_u32_e32 vcc, s24, v5
	s_nop 1
	v_cndmask_b32_e32 v18, v1, v7, vcc
.LBB0_6:                                ;   in Loop: Header=BB0_2 Depth=1
	s_or_b64 exec, exec, s[2:3]
	v_mad_u64_u32 v[10:11], s[2:3], v18, s24, 0
	s_load_dwordx2 s[2:3], s[18:19], 0x0
	s_add_u32 s22, s22, 1
	v_mul_lo_u32 v1, v19, s24
	v_mul_lo_u32 v5, v18, s25
	s_load_dwordx2 s[24:25], s[16:17], 0x0
	s_addc_u32 s23, s23, 0
	v_add3_u32 v1, v11, v5, v1
	v_sub_co_u32_e32 v5, vcc, v8, v10
	s_add_u32 s16, s16, 8
	s_nop 0
	v_subb_co_u32_e32 v1, vcc, v9, v1, vcc
	s_addc_u32 s17, s17, 0
	s_waitcnt lgkmcnt(0)
	v_mul_lo_u32 v7, s2, v1
	v_mul_lo_u32 v8, s3, v5
	v_mad_u64_u32 v[2:3], s[2:3], s2, v5, v[2:3]
	s_add_u32 s18, s18, 8
	v_add3_u32 v3, v8, v3, v7
	s_addc_u32 s19, s19, 0
	v_mov_b64_e32 v[8:9], s[10:11]
	v_mul_lo_u32 v1, s24, v1
	v_mul_lo_u32 v7, s25, v5
	v_mad_u64_u32 v[16:17], s[2:3], s24, v5, v[16:17]
	s_add_u32 s20, s20, 8
	v_cmp_ge_u64_e32 vcc, s[22:23], v[8:9]
	v_add3_u32 v17, v7, v17, v1
	s_addc_u32 s21, s21, 0
	s_cbranch_vccnz .LBB0_8
; %bb.7:                                ;   in Loop: Header=BB0_2 Depth=1
	v_mov_b64_e32 v[8:9], v[18:19]
	s_branch .LBB0_2
.LBB0_8:
	s_load_dwordx2 s[18:19], s[0:1], 0x28
	s_mov_b32 s0, 0xaaaaaaab
	v_mul_hi_u32 v1, v4, s0
	s_lshl_b64 s[16:17], s[10:11], 3
	v_lshrrev_b32_e32 v1, 1, v1
	s_add_u32 s2, s14, s16
	v_lshl_add_u32 v1, v1, 1, v1
	s_addc_u32 s3, s15, s17
	v_sub_u32_e32 v1, v4, v1
	s_waitcnt lgkmcnt(0)
	v_cmp_gt_u64_e64 s[0:1], s[18:19], v[18:19]
	v_cmp_le_u64_e32 vcc, s[18:19], v[18:19]
                                        ; implicit-def: $vgpr20
	s_and_saveexec_b64 s[10:11], vcc
	s_xor_b64 s[10:11], exec, s[10:11]
; %bb.9:
	s_mov_b32 s14, 0x6666667
	v_mul_hi_u32 v2, v0, s14
	v_mul_u32_u24_e32 v2, 40, v2
	v_sub_u32_e32 v20, v0, v2
                                        ; implicit-def: $vgpr0
                                        ; implicit-def: $vgpr2_vgpr3
; %bb.10:
	s_or_saveexec_b64 s[10:11], s[10:11]
	s_load_dwordx2 s[2:3], s[2:3], 0x0
	v_mul_u32_u24_e32 v4, 0x191, v1
	v_lshlrev_b32_e32 v24, 4, v4
	s_xor_b64 exec, exec, s[10:11]
	s_cbranch_execz .LBB0_14
; %bb.11:
	s_add_u32 s12, s12, s16
	s_addc_u32 s13, s13, s17
	s_load_dwordx2 s[12:13], s[12:13], 0x0
	s_mov_b32 s14, 0x6666667
	v_mov_b32_e32 v15, 0
	s_waitcnt lgkmcnt(0)
	v_mul_lo_u32 v1, s13, v18
	v_mul_lo_u32 v5, s12, v19
	v_mad_u64_u32 v[6:7], s[12:13], s12, v18, 0
	v_add3_u32 v7, v7, v5, v1
	v_mul_hi_u32 v1, v0, s14
	v_mul_u32_u24_e32 v1, 40, v1
	v_sub_u32_e32 v20, v0, v1
	v_lshl_add_u64 v[0:1], v[6:7], 4, s[4:5]
	v_lshl_add_u64 v[0:1], v[2:3], 4, v[0:1]
	v_lshlrev_b32_e32 v14, 4, v20
	v_lshl_add_u64 v[22:23], v[0:1], 0, v[14:15]
	s_movk_i32 s4, 0x1000
	v_add3_u32 v2, 0, v24, v14
	v_add_co_u32_e32 v58, vcc, s4, v22
	v_or_b32_e32 v14, 0x1400, v14
	global_load_dwordx4 v[6:9], v[22:23], off
	global_load_dwordx4 v[10:13], v[22:23], off offset:640
	global_load_dwordx4 v[26:29], v[22:23], off offset:1280
	;; [unrolled: 1-line block ×5, first 2 shown]
	v_addc_co_u32_e32 v59, vcc, 0, v23, vcc
	v_lshl_add_u64 v[14:15], v[0:1], 0, v[14:15]
	global_load_dwordx4 v[42:45], v[22:23], off offset:3840
	global_load_dwordx4 v[46:49], v[14:15], off
	global_load_dwordx4 v[50:53], v[58:59], off offset:384
	global_load_dwordx4 v[54:57], v[58:59], off offset:1664
	v_cmp_eq_u32_e32 vcc, 39, v20
	s_waitcnt vmcnt(9)
	ds_write_b128 v2, v[6:9]
	s_waitcnt vmcnt(8)
	ds_write_b128 v2, v[10:13] offset:640
	s_waitcnt vmcnt(7)
	ds_write_b128 v2, v[26:29] offset:1280
	;; [unrolled: 2-line block ×9, first 2 shown]
	s_and_saveexec_b64 s[4:5], vcc
	s_cbranch_execz .LBB0_13
; %bb.12:
	v_add_co_u32_e32 v0, vcc, 0x1000, v0
	v_mov_b32_e32 v20, 39
	s_nop 0
	v_addc_co_u32_e32 v1, vcc, 0, v1, vcc
	global_load_dwordx4 v[6:9], v[0:1], off offset:2304
	s_waitcnt vmcnt(0)
	ds_write_b128 v2, v[6:9] offset:5776
.LBB0_13:
	s_or_b64 exec, exec, s[4:5]
.LBB0_14:
	s_or_b64 exec, exec, s[10:11]
	v_lshl_add_u32 v22, v4, 4, 0
	v_lshlrev_b32_e32 v11, 4, v20
	v_add_u32_e32 v23, v22, v11
	s_waitcnt lgkmcnt(0)
	s_barrier
	v_sub_u32_e32 v10, v22, v11
	ds_read_b64 v[6:7], v23
	ds_read_b64 v[8:9], v10 offset:6400
	s_add_u32 s4, s8, 0x18c0
	s_addc_u32 s5, s9, 0
	v_cmp_ne_u32_e32 vcc, 0, v20
                                        ; implicit-def: $vgpr4_vgpr5
	s_waitcnt lgkmcnt(0)
	v_add_f64 v[0:1], v[6:7], v[8:9]
	v_add_f64 v[2:3], v[6:7], -v[8:9]
	s_and_saveexec_b64 s[10:11], vcc
	s_xor_b64 s[10:11], exec, s[10:11]
	s_cbranch_execz .LBB0_16
; %bb.15:
	v_mov_b32_e32 v21, 0
	v_lshl_add_u64 v[0:1], v[20:21], 4, s[4:5]
	global_load_dwordx4 v[12:15], v[0:1], off
	ds_read_b64 v[0:1], v10 offset:6408
	ds_read_b64 v[2:3], v23 offset:8
	v_add_f64 v[4:5], v[6:7], v[8:9]
	v_add_f64 v[8:9], v[6:7], -v[8:9]
	s_waitcnt lgkmcnt(0)
	v_add_f64 v[26:27], v[0:1], v[2:3]
	v_add_f64 v[0:1], v[2:3], -v[0:1]
	s_waitcnt vmcnt(0)
	v_fma_f64 v[28:29], v[8:9], v[14:15], v[4:5]
	v_fma_f64 v[4:5], -v[8:9], v[14:15], v[4:5]
	v_fma_f64 v[6:7], v[26:27], v[14:15], -v[0:1]
	v_fma_f64 v[2:3], v[26:27], v[14:15], v[0:1]
	v_fmac_f64_e32 v[4:5], v[26:27], v[12:13]
	v_fmac_f64_e32 v[6:7], v[8:9], v[12:13]
	v_fma_f64 v[0:1], -v[26:27], v[12:13], v[28:29]
	v_fmac_f64_e32 v[2:3], v[8:9], v[12:13]
	ds_write_b128 v10, v[4:7] offset:6400
	v_mov_b64_e32 v[4:5], v[20:21]
.LBB0_16:
	s_andn2_saveexec_b64 s[10:11], s[10:11]
	s_cbranch_execz .LBB0_18
; %bb.17:
	ds_read_b128 v[4:7], v22 offset:3200
	s_waitcnt lgkmcnt(0)
	v_add_f64 v[4:5], v[4:5], v[4:5]
	v_mul_f64 v[6:7], v[6:7], -2.0
	ds_write_b128 v22, v[4:7] offset:3200
	v_mov_b64_e32 v[4:5], 0
.LBB0_18:
	s_or_b64 exec, exec, s[10:11]
	v_lshl_add_u64 v[8:9], v[4:5], 4, s[4:5]
	global_load_dwordx4 v[4:7], v[8:9], off offset:640
	global_load_dwordx4 v[12:15], v[8:9], off offset:1280
	;; [unrolled: 1-line block ×4, first 2 shown]
	ds_write_b128 v23, v[0:3]
	ds_read_b128 v[0:3], v23 offset:640
	ds_read_b128 v[34:37], v10 offset:5760
	v_add3_u32 v21, 0, v11, v24
	v_lshlrev_b32_e32 v25, 6, v20
	v_add3_u32 v25, v25, 0, v24
	v_cmp_gt_u32_e32 vcc, 20, v20
	s_waitcnt lgkmcnt(0)
	v_add_f64 v[8:9], v[0:1], v[34:35]
	v_add_f64 v[38:39], v[36:37], v[2:3]
	v_add_f64 v[40:41], v[0:1], -v[34:35]
	v_add_f64 v[0:1], v[2:3], -v[36:37]
	s_waitcnt vmcnt(3)
	v_fma_f64 v[42:43], v[40:41], v[6:7], v[8:9]
	v_fma_f64 v[2:3], v[38:39], v[6:7], v[0:1]
	v_fma_f64 v[34:35], -v[40:41], v[6:7], v[8:9]
	v_fma_f64 v[36:37], v[38:39], v[6:7], -v[0:1]
	v_fma_f64 v[0:1], -v[38:39], v[4:5], v[42:43]
	v_fmac_f64_e32 v[2:3], v[40:41], v[4:5]
	v_fmac_f64_e32 v[34:35], v[38:39], v[4:5]
	v_fmac_f64_e32 v[36:37], v[40:41], v[4:5]
	ds_write_b128 v23, v[0:3] offset:640
	ds_write_b128 v10, v[34:37] offset:5760
	ds_read_b128 v[0:3], v23 offset:1280
	ds_read_b128 v[4:7], v10 offset:5120
	s_waitcnt lgkmcnt(0)
	v_add_f64 v[8:9], v[0:1], v[4:5]
	v_add_f64 v[34:35], v[6:7], v[2:3]
	v_add_f64 v[36:37], v[0:1], -v[4:5]
	v_add_f64 v[0:1], v[2:3], -v[6:7]
	s_waitcnt vmcnt(2)
	v_fma_f64 v[38:39], v[36:37], v[14:15], v[8:9]
	v_fma_f64 v[2:3], v[34:35], v[14:15], v[0:1]
	v_fma_f64 v[4:5], -v[36:37], v[14:15], v[8:9]
	v_fma_f64 v[6:7], v[34:35], v[14:15], -v[0:1]
	v_fma_f64 v[0:1], -v[34:35], v[12:13], v[38:39]
	v_fmac_f64_e32 v[2:3], v[36:37], v[12:13]
	v_fmac_f64_e32 v[4:5], v[34:35], v[12:13]
	v_fmac_f64_e32 v[6:7], v[36:37], v[12:13]
	ds_write_b128 v23, v[0:3] offset:1280
	ds_write_b128 v10, v[4:7] offset:5120
	ds_read_b128 v[0:3], v23 offset:1920
	ds_read_b128 v[4:7], v10 offset:4480
	;; [unrolled: 18-line block ×3, first 2 shown]
	s_waitcnt lgkmcnt(0)
	v_add_f64 v[8:9], v[0:1], v[4:5]
	v_add_f64 v[12:13], v[6:7], v[2:3]
	v_add_f64 v[14:15], v[0:1], -v[4:5]
	v_add_f64 v[0:1], v[2:3], -v[6:7]
	s_waitcnt vmcnt(0)
	v_fma_f64 v[26:27], v[14:15], v[32:33], v[8:9]
	v_fma_f64 v[2:3], v[12:13], v[32:33], v[0:1]
	v_fma_f64 v[4:5], -v[14:15], v[32:33], v[8:9]
	v_fma_f64 v[6:7], v[12:13], v[32:33], -v[0:1]
	v_fma_f64 v[0:1], -v[12:13], v[30:31], v[26:27]
	v_fmac_f64_e32 v[2:3], v[14:15], v[30:31]
	v_fmac_f64_e32 v[4:5], v[12:13], v[30:31]
	;; [unrolled: 1-line block ×3, first 2 shown]
	ds_write_b128 v23, v[0:3] offset:2560
	ds_write_b128 v10, v[4:7] offset:3840
	s_waitcnt lgkmcnt(0)
	s_barrier
	s_barrier
	ds_read_b128 v[26:29], v23
	ds_read_b128 v[30:33], v21 offset:640
	ds_read_b128 v[34:37], v21 offset:3200
	;; [unrolled: 1-line block ×11, first 2 shown]
	s_waitcnt lgkmcnt(9)
	v_add_f64 v[58:59], v[26:27], -v[34:35]
	v_add_f64 v[60:61], v[28:29], -v[36:37]
	s_waitcnt lgkmcnt(3)
	v_add_f64 v[34:35], v[42:43], -v[50:51]
	v_add_f64 v[36:37], v[44:45], -v[52:53]
	;; [unrolled: 1-line block ×4, first 2 shown]
	s_waitcnt lgkmcnt(1)
	v_add_f64 v[54:55], v[46:47], -v[54:55]
	v_add_f64 v[38:39], v[48:49], -v[56:57]
	v_fma_f64 v[50:51], v[26:27], 2.0, -v[58:59]
	v_fma_f64 v[52:53], v[28:29], 2.0, -v[60:61]
	;; [unrolled: 1-line block ×8, first 2 shown]
	v_add_f64 v[26:27], v[58:59], -v[36:37]
	v_add_f64 v[28:29], v[60:61], v[34:35]
	v_add_f64 v[34:35], v[50:51], -v[40:41]
	v_add_f64 v[36:37], v[52:53], -v[42:43]
	;; [unrolled: 1-line block ×5, first 2 shown]
	v_fma_f64 v[38:39], v[58:59], 2.0, -v[26:27]
	v_fma_f64 v[46:47], v[50:51], 2.0, -v[34:35]
	;; [unrolled: 1-line block ×5, first 2 shown]
	v_add_f64 v[32:33], v[64:65], v[54:55]
	v_mad_u32_u24 v58, v20, 48, v21
	v_fma_f64 v[40:41], v[60:61], 2.0, -v[28:29]
	v_fma_f64 v[54:55], v[62:63], 2.0, -v[30:31]
	;; [unrolled: 1-line block ×3, first 2 shown]
	s_waitcnt lgkmcnt(0)
	s_barrier
	ds_write_b128 v58, v[46:49]
	ds_write_b128 v58, v[38:41] offset:16
	ds_write_b128 v58, v[34:37] offset:32
	;; [unrolled: 1-line block ×7, first 2 shown]
	s_and_saveexec_b64 s[4:5], vcc
	s_cbranch_execz .LBB0_20
; %bb.19:
	v_add_f64 v[30:31], v[2:3], -v[10:11]
	v_add_f64 v[12:13], v[4:5], -v[12:13]
	v_add_f64 v[10:11], v[30:31], v[12:13]
	v_add_f64 v[32:33], v[0:1], -v[8:9]
	v_add_f64 v[14:15], v[6:7], -v[14:15]
	v_fma_f64 v[28:29], v[30:31], 2.0, -v[10:11]
	v_add_f64 v[8:9], v[32:33], -v[14:15]
	v_fma_f64 v[30:31], v[2:3], 2.0, -v[30:31]
	v_fma_f64 v[2:3], v[6:7], 2.0, -v[14:15]
	;; [unrolled: 1-line block ×4, first 2 shown]
	v_add_f64 v[2:3], v[30:31], -v[2:3]
	v_add_f64 v[0:1], v[14:15], -v[0:1]
	v_fma_f64 v[6:7], v[30:31], 2.0, -v[2:3]
	v_fma_f64 v[4:5], v[14:15], 2.0, -v[0:1]
	;; [unrolled: 1-line block ×3, first 2 shown]
	ds_write_b128 v25, v[4:7] offset:5120
	ds_write_b128 v25, v[26:29] offset:5136
	;; [unrolled: 1-line block ×4, first 2 shown]
.LBB0_20:
	s_or_b64 exec, exec, s[4:5]
	v_and_b32_e32 v25, 3, v20
	v_mul_u32_u24_e32 v0, 9, v25
	v_lshlrev_b32_e32 v0, 4, v0
	s_waitcnt lgkmcnt(0)
	s_barrier
	global_load_dwordx4 v[8:11], v0, s[8:9]
	global_load_dwordx4 v[12:15], v0, s[8:9] offset:16
	global_load_dwordx4 v[26:29], v0, s[8:9] offset:32
	;; [unrolled: 1-line block ×8, first 2 shown]
	ds_read_b128 v[54:57], v21 offset:640
	ds_read_b128 v[58:61], v21 offset:1280
	;; [unrolled: 1-line block ×3, first 2 shown]
	ds_read_b128 v[0:3], v23
	s_mov_b32 s12, 0x134454ff
	s_mov_b32 s13, 0x3fee6f0e
	;; [unrolled: 1-line block ×12, first 2 shown]
	s_waitcnt vmcnt(8) lgkmcnt(3)
	v_mul_f64 v[4:5], v[56:57], v[10:11]
	v_mul_f64 v[6:7], v[54:55], v[10:11]
	v_fma_f64 v[4:5], v[54:55], v[8:9], -v[4:5]
	v_fmac_f64_e32 v[6:7], v[56:57], v[8:9]
	ds_read_b128 v[8:11], v21 offset:2560
	ds_read_b128 v[54:57], v21 offset:3200
	s_waitcnt vmcnt(7) lgkmcnt(4)
	v_mul_f64 v[68:69], v[58:59], v[14:15]
	v_mul_f64 v[66:67], v[60:61], v[14:15]
	s_waitcnt vmcnt(6) lgkmcnt(3)
	v_mul_f64 v[14:15], v[64:65], v[28:29]
	v_fmac_f64_e32 v[68:69], v[60:61], v[12:13]
	v_mul_f64 v[60:61], v[62:63], v[28:29]
	v_fma_f64 v[58:59], v[58:59], v[12:13], -v[66:67]
	v_fma_f64 v[62:63], v[62:63], v[26:27], -v[14:15]
	v_fmac_f64_e32 v[60:61], v[64:65], v[26:27]
	ds_read_b128 v[12:15], v21 offset:3840
	ds_read_b128 v[26:29], v21 offset:4480
	s_waitcnt vmcnt(5) lgkmcnt(3)
	v_mul_f64 v[64:65], v[10:11], v[32:33]
	v_mul_f64 v[66:67], v[8:9], v[32:33]
	s_waitcnt vmcnt(4) lgkmcnt(2)
	v_mul_f64 v[32:33], v[56:57], v[36:37]
	v_fma_f64 v[64:65], v[8:9], v[30:31], -v[64:65]
	v_fmac_f64_e32 v[66:67], v[10:11], v[30:31]
	v_mul_f64 v[36:37], v[54:55], v[36:37]
	v_fma_f64 v[54:55], v[54:55], v[34:35], -v[32:33]
	ds_read_b128 v[8:11], v21 offset:5120
	ds_read_b128 v[30:33], v21 offset:5760
	v_fmac_f64_e32 v[36:37], v[56:57], v[34:35]
	s_waitcnt vmcnt(3) lgkmcnt(3)
	v_mul_f64 v[34:35], v[14:15], v[40:41]
	v_mul_f64 v[40:41], v[12:13], v[40:41]
	s_waitcnt vmcnt(2) lgkmcnt(2)
	v_mul_f64 v[56:57], v[28:29], v[44:45]
	v_fma_f64 v[34:35], v[12:13], v[38:39], -v[34:35]
	v_fmac_f64_e32 v[40:41], v[14:15], v[38:39]
	v_mul_f64 v[38:39], v[26:27], v[44:45]
	s_waitcnt vmcnt(1) lgkmcnt(1)
	v_mul_f64 v[12:13], v[10:11], v[48:49]
	v_mul_f64 v[44:45], v[8:9], v[48:49]
	v_fma_f64 v[26:27], v[26:27], v[42:43], -v[56:57]
	v_fmac_f64_e32 v[38:39], v[28:29], v[42:43]
	v_fma_f64 v[42:43], v[8:9], v[46:47], -v[12:13]
	s_waitcnt vmcnt(0) lgkmcnt(0)
	v_mul_f64 v[14:15], v[32:33], v[52:53]
	v_mul_f64 v[28:29], v[30:31], v[52:53]
	v_fmac_f64_e32 v[44:45], v[10:11], v[46:47]
	v_add_f64 v[8:9], v[58:59], -v[64:65]
	v_add_f64 v[10:11], v[42:43], -v[34:35]
	v_add_f64 v[12:13], v[64:65], v[34:35]
	v_fma_f64 v[30:31], v[30:31], v[50:51], -v[14:15]
	v_fmac_f64_e32 v[28:29], v[32:33], v[50:51]
	v_add_f64 v[50:51], v[68:69], -v[44:45]
	v_add_f64 v[10:11], v[8:9], v[10:11]
	v_fma_f64 v[8:9], -0.5, v[12:13], v[0:1]
	v_add_f64 v[32:33], v[58:59], v[42:43]
	v_add_f64 v[52:53], v[66:67], -v[40:41]
	v_fma_f64 v[12:13], s[12:13], v[50:51], v[8:9]
	v_fmac_f64_e32 v[8:9], s[16:17], v[50:51]
	v_add_f64 v[14:15], v[0:1], v[58:59]
	v_fmac_f64_e32 v[0:1], -0.5, v[32:33]
	v_fmac_f64_e32 v[12:13], s[4:5], v[52:53]
	v_fmac_f64_e32 v[8:9], s[10:11], v[52:53]
	v_add_f64 v[46:47], v[64:65], -v[58:59]
	v_add_f64 v[48:49], v[34:35], -v[42:43]
	v_fmac_f64_e32 v[12:13], s[14:15], v[10:11]
	v_fmac_f64_e32 v[8:9], s[14:15], v[10:11]
	v_fma_f64 v[10:11], s[16:17], v[52:53], v[0:1]
	v_fmac_f64_e32 v[0:1], s[12:13], v[52:53]
	v_add_f64 v[14:15], v[14:15], v[64:65]
	v_add_f64 v[32:33], v[46:47], v[48:49]
	v_fmac_f64_e32 v[10:11], s[4:5], v[50:51]
	v_fmac_f64_e32 v[0:1], s[10:11], v[50:51]
	v_add_f64 v[14:15], v[14:15], v[34:35]
	v_fmac_f64_e32 v[10:11], s[14:15], v[32:33]
	v_fmac_f64_e32 v[0:1], s[14:15], v[32:33]
	v_add_f64 v[32:33], v[14:15], v[42:43]
	v_add_f64 v[14:15], v[68:69], -v[66:67]
	v_add_f64 v[46:47], v[44:45], -v[40:41]
	v_add_f64 v[46:47], v[14:15], v[46:47]
	v_add_f64 v[14:15], v[66:67], v[40:41]
	v_add_f64 v[42:43], v[58:59], -v[42:43]
	v_fma_f64 v[14:15], -0.5, v[14:15], v[2:3]
	v_add_f64 v[34:35], v[64:65], -v[34:35]
	v_fma_f64 v[48:49], s[16:17], v[42:43], v[14:15]
	v_fmac_f64_e32 v[14:15], s[12:13], v[42:43]
	v_fmac_f64_e32 v[48:49], s[10:11], v[34:35]
	;; [unrolled: 1-line block ×5, first 2 shown]
	v_add_f64 v[46:47], v[2:3], v[68:69]
	v_add_f64 v[50:51], v[68:69], v[44:45]
	v_add_f64 v[46:47], v[46:47], v[66:67]
	v_fmac_f64_e32 v[2:3], -0.5, v[50:51]
	v_add_f64 v[50:51], v[66:67], -v[68:69]
	v_add_f64 v[46:47], v[46:47], v[40:41]
	v_add_f64 v[40:41], v[40:41], -v[44:45]
	v_add_f64 v[40:41], v[50:51], v[40:41]
	v_fma_f64 v[50:51], s[12:13], v[34:35], v[2:3]
	v_fmac_f64_e32 v[2:3], s[16:17], v[34:35]
	v_fmac_f64_e32 v[50:51], s[10:11], v[42:43]
	;; [unrolled: 1-line block ×3, first 2 shown]
	v_add_f64 v[34:35], v[54:55], v[26:27]
	v_fmac_f64_e32 v[50:51], s[14:15], v[40:41]
	v_fmac_f64_e32 v[2:3], s[14:15], v[40:41]
	v_fma_f64 v[52:53], -0.5, v[34:35], v[4:5]
	v_add_f64 v[34:35], v[62:63], -v[54:55]
	v_add_f64 v[40:41], v[30:31], -v[26:27]
	v_add_f64 v[34:35], v[34:35], v[40:41]
	v_add_f64 v[40:41], v[60:61], -v[28:29]
	v_add_f64 v[46:47], v[46:47], v[44:45]
	v_fma_f64 v[42:43], s[12:13], v[40:41], v[52:53]
	v_add_f64 v[44:45], v[36:37], -v[38:39]
	v_fmac_f64_e32 v[52:53], s[16:17], v[40:41]
	v_fmac_f64_e32 v[42:43], s[4:5], v[44:45]
	;; [unrolled: 1-line block ×3, first 2 shown]
	v_add_f64 v[56:57], v[62:63], v[30:31]
	v_fmac_f64_e32 v[42:43], s[14:15], v[34:35]
	v_fmac_f64_e32 v[52:53], s[14:15], v[34:35]
	v_add_f64 v[34:35], v[4:5], v[62:63]
	v_fmac_f64_e32 v[4:5], -0.5, v[56:57]
	v_add_f64 v[56:57], v[54:55], -v[62:63]
	v_add_f64 v[58:59], v[26:27], -v[30:31]
	v_add_f64 v[56:57], v[56:57], v[58:59]
	v_fma_f64 v[58:59], s[16:17], v[44:45], v[4:5]
	v_fmac_f64_e32 v[4:5], s[12:13], v[44:45]
	v_fmac_f64_e32 v[58:59], s[4:5], v[40:41]
	;; [unrolled: 1-line block ×3, first 2 shown]
	v_add_f64 v[34:35], v[34:35], v[54:55]
	v_add_f64 v[40:41], v[60:61], -v[36:37]
	v_add_f64 v[44:45], v[28:29], -v[38:39]
	v_add_f64 v[34:35], v[34:35], v[26:27]
	v_add_f64 v[40:41], v[40:41], v[44:45]
	;; [unrolled: 1-line block ×4, first 2 shown]
	v_add_f64 v[30:31], v[62:63], -v[30:31]
	v_add_f64 v[26:27], v[54:55], -v[26:27]
	v_fma_f64 v[54:55], -0.5, v[44:45], v[6:7]
	v_fma_f64 v[44:45], s[16:17], v[30:31], v[54:55]
	v_fmac_f64_e32 v[54:55], s[12:13], v[30:31]
	v_fmac_f64_e32 v[44:45], s[10:11], v[26:27]
	;; [unrolled: 1-line block ×5, first 2 shown]
	v_add_f64 v[40:41], v[6:7], v[60:61]
	v_fmac_f64_e32 v[58:59], s[14:15], v[56:57]
	v_fmac_f64_e32 v[4:5], s[14:15], v[56:57]
	v_add_f64 v[56:57], v[60:61], v[28:29]
	v_add_f64 v[40:41], v[40:41], v[36:37]
	v_fmac_f64_e32 v[6:7], -0.5, v[56:57]
	v_add_f64 v[40:41], v[40:41], v[38:39]
	v_add_f64 v[36:37], v[36:37], -v[60:61]
	v_add_f64 v[40:41], v[40:41], v[28:29]
	v_add_f64 v[28:29], v[38:39], -v[28:29]
	v_fma_f64 v[56:57], s[12:13], v[26:27], v[6:7]
	v_fmac_f64_e32 v[6:7], s[16:17], v[26:27]
	v_add_f64 v[28:29], v[36:37], v[28:29]
	v_fmac_f64_e32 v[6:7], s[4:5], v[30:31]
	v_fmac_f64_e32 v[6:7], s[14:15], v[28:29]
	v_mul_f64 v[26:27], v[4:5], s[14:15]
	v_fmac_f64_e32 v[56:57], s[10:11], v[30:31]
	v_fma_f64 v[30:31], v[6:7], s[12:13], -v[26:27]
	v_mul_f64 v[6:7], v[6:7], s[14:15]
	v_fma_f64 v[4:5], v[4:5], s[16:17], -v[6:7]
	v_mul_f64 v[38:39], v[44:45], s[4:5]
	v_fmac_f64_e32 v[56:57], s[14:15], v[28:29]
	v_add_f64 v[26:27], v[0:1], v[30:31]
	v_add_f64 v[28:29], v[2:3], v[4:5]
	v_add_f64 v[0:1], v[0:1], -v[30:31]
	v_add_f64 v[2:3], v[2:3], -v[4:5]
	v_add_f64 v[4:5], v[32:33], v[34:35]
	v_fmac_f64_e32 v[38:39], s[18:19], v[42:43]
	v_add_f64 v[6:7], v[46:47], v[40:41]
	v_add_f64 v[30:31], v[32:33], -v[34:35]
	v_add_f64 v[32:33], v[46:47], -v[40:41]
	v_mul_f64 v[40:41], v[42:43], s[10:11]
	v_add_f64 v[34:35], v[12:13], v[38:39]
	v_fmac_f64_e32 v[40:41], s[18:19], v[44:45]
	v_mul_f64 v[46:47], v[56:57], s[12:13]
	v_add_f64 v[38:39], v[12:13], -v[38:39]
	v_mul_f64 v[12:13], v[58:59], s[16:17]
	v_mul_f64 v[44:45], v[52:53], s[18:19]
	v_fmac_f64_e32 v[46:47], s[14:15], v[58:59]
	v_fmac_f64_e32 v[12:13], s[14:15], v[56:57]
	v_fma_f64 v[56:57], v[54:55], s[4:5], -v[44:45]
	v_add_f64 v[42:43], v[10:11], v[46:47]
	v_add_f64 v[44:45], v[50:51], v[12:13]
	v_add_f64 v[10:11], v[10:11], -v[46:47]
	v_add_f64 v[12:13], v[50:51], -v[12:13]
	v_add_f64 v[46:47], v[8:9], v[56:57]
	v_add_f64 v[50:51], v[8:9], -v[56:57]
	v_lshrrev_b32_e32 v8, 2, v20
	v_mul_u32_u24_e32 v8, 40, v8
	v_or_b32_e32 v8, v8, v25
	v_add_f64 v[36:37], v[48:49], v[40:41]
	v_add_f64 v[40:41], v[48:49], -v[40:41]
	v_mul_f64 v[48:49], v[54:55], s[18:19]
	v_lshlrev_b32_e32 v8, 4, v8
	v_fma_f64 v[52:53], v[52:53], s[10:11], -v[48:49]
	v_add3_u32 v8, 0, v8, v24
	v_add_f64 v[48:49], v[14:15], v[52:53]
	v_add_f64 v[52:53], v[14:15], -v[52:53]
	s_barrier
	ds_write_b128 v8, v[4:7]
	ds_write_b128 v8, v[34:37] offset:64
	ds_write_b128 v8, v[42:45] offset:128
	;; [unrolled: 1-line block ×9, first 2 shown]
	v_mul_u32_u24_e32 v0, 9, v20
	v_lshlrev_b32_e32 v0, 4, v0
	s_waitcnt lgkmcnt(0)
	s_barrier
	global_load_dwordx4 v[8:11], v0, s[8:9] offset:576
	global_load_dwordx4 v[12:15], v0, s[8:9] offset:592
	;; [unrolled: 1-line block ×9, first 2 shown]
	ds_read_b128 v[52:55], v21 offset:640
	ds_read_b128 v[0:3], v23
	ds_read_b128 v[56:59], v21 offset:1280
	s_waitcnt vmcnt(8) lgkmcnt(2)
	v_mul_f64 v[4:5], v[54:55], v[10:11]
	v_mul_f64 v[6:7], v[52:53], v[10:11]
	v_fma_f64 v[4:5], v[52:53], v[8:9], -v[4:5]
	v_fmac_f64_e32 v[6:7], v[54:55], v[8:9]
	ds_read_b128 v[8:11], v21 offset:1920
	s_waitcnt vmcnt(7) lgkmcnt(1)
	v_mul_f64 v[52:53], v[58:59], v[14:15]
	v_mul_f64 v[54:55], v[56:57], v[14:15]
	v_fma_f64 v[52:53], v[56:57], v[12:13], -v[52:53]
	v_fmac_f64_e32 v[54:55], v[58:59], v[12:13]
	;; [unrolled: 6-line block ×7, first 2 shown]
	ds_read_b128 v[8:11], v21 offset:5760
	s_waitcnt vmcnt(1) lgkmcnt(1)
	v_mul_f64 v[40:41], v[14:15], v[46:47]
	v_fma_f64 v[40:41], v[12:13], v[44:45], -v[40:41]
	v_mul_f64 v[12:13], v[12:13], v[46:47]
	v_fmac_f64_e32 v[12:13], v[14:15], v[44:45]
	s_waitcnt vmcnt(0) lgkmcnt(0)
	v_mul_f64 v[14:15], v[10:11], v[50:51]
	v_fma_f64 v[14:15], v[8:9], v[48:49], -v[14:15]
	v_mul_f64 v[44:45], v[8:9], v[50:51]
	v_add_f64 v[8:9], v[24:25], v[32:33]
	v_fmac_f64_e32 v[44:45], v[10:11], v[48:49]
	v_fma_f64 v[8:9], -0.5, v[8:9], v[0:1]
	v_add_f64 v[46:47], v[54:55], -v[12:13]
	v_add_f64 v[48:49], v[52:53], -v[24:25]
	v_add_f64 v[50:51], v[40:41], -v[32:33]
	v_fma_f64 v[10:11], s[12:13], v[46:47], v[8:9]
	v_add_f64 v[48:49], v[48:49], v[50:51]
	v_add_f64 v[50:51], v[30:31], -v[38:39]
	v_fmac_f64_e32 v[8:9], s[16:17], v[46:47]
	v_fmac_f64_e32 v[10:11], s[4:5], v[50:51]
	;; [unrolled: 1-line block ×3, first 2 shown]
	v_add_f64 v[58:59], v[52:53], v[40:41]
	v_fmac_f64_e32 v[10:11], s[14:15], v[48:49]
	v_fmac_f64_e32 v[8:9], s[14:15], v[48:49]
	v_add_f64 v[48:49], v[0:1], v[52:53]
	v_fmac_f64_e32 v[0:1], -0.5, v[58:59]
	v_add_f64 v[58:59], v[24:25], -v[52:53]
	v_add_f64 v[60:61], v[32:33], -v[40:41]
	v_add_f64 v[58:59], v[58:59], v[60:61]
	v_fma_f64 v[60:61], s[16:17], v[50:51], v[0:1]
	v_fmac_f64_e32 v[0:1], s[12:13], v[50:51]
	v_fmac_f64_e32 v[60:61], s[4:5], v[46:47]
	;; [unrolled: 1-line block ×3, first 2 shown]
	v_add_f64 v[46:47], v[48:49], v[24:25]
	v_add_f64 v[46:47], v[46:47], v[32:33]
	v_add_f64 v[48:49], v[30:31], v[38:39]
	v_add_f64 v[46:47], v[46:47], v[40:41]
	v_fma_f64 v[48:49], -0.5, v[48:49], v[2:3]
	v_add_f64 v[40:41], v[52:53], -v[40:41]
	v_add_f64 v[24:25], v[24:25], -v[32:33]
	;; [unrolled: 1-line block ×4, first 2 shown]
	v_add_f64 v[32:33], v[32:33], v[50:51]
	v_fma_f64 v[50:51], s[16:17], v[40:41], v[48:49]
	v_fmac_f64_e32 v[48:49], s[12:13], v[40:41]
	v_fmac_f64_e32 v[50:51], s[10:11], v[24:25]
	;; [unrolled: 1-line block ×5, first 2 shown]
	v_add_f64 v[32:33], v[2:3], v[54:55]
	v_add_f64 v[52:53], v[54:55], v[12:13]
	v_add_f64 v[32:33], v[32:33], v[30:31]
	v_fmac_f64_e32 v[2:3], -0.5, v[52:53]
	v_add_f64 v[32:33], v[32:33], v[38:39]
	v_add_f64 v[32:33], v[32:33], v[12:13]
	v_add_f64 v[30:31], v[30:31], -v[54:55]
	v_fma_f64 v[52:53], s[12:13], v[24:25], v[2:3]
	v_add_f64 v[12:13], v[38:39], -v[12:13]
	v_fmac_f64_e32 v[2:3], s[16:17], v[24:25]
	v_fmac_f64_e32 v[52:53], s[10:11], v[40:41]
	v_add_f64 v[12:13], v[30:31], v[12:13]
	v_fmac_f64_e32 v[2:3], s[4:5], v[40:41]
	v_fmac_f64_e32 v[52:53], s[14:15], v[12:13]
	;; [unrolled: 1-line block ×3, first 2 shown]
	v_add_f64 v[12:13], v[28:29], v[36:37]
	v_fma_f64 v[38:39], -0.5, v[12:13], v[4:5]
	v_add_f64 v[12:13], v[26:27], -v[44:45]
	v_add_f64 v[24:25], v[56:57], -v[28:29]
	v_add_f64 v[40:41], v[14:15], -v[36:37]
	v_fma_f64 v[30:31], s[12:13], v[12:13], v[38:39]
	v_add_f64 v[24:25], v[24:25], v[40:41]
	v_add_f64 v[40:41], v[34:35], -v[42:43]
	v_fmac_f64_e32 v[38:39], s[16:17], v[12:13]
	v_fmac_f64_e32 v[30:31], s[4:5], v[40:41]
	;; [unrolled: 1-line block ×3, first 2 shown]
	v_add_f64 v[54:55], v[56:57], v[14:15]
	v_fmac_f64_e32 v[60:61], s[14:15], v[58:59]
	v_fmac_f64_e32 v[0:1], s[14:15], v[58:59]
	;; [unrolled: 1-line block ×4, first 2 shown]
	v_add_f64 v[24:25], v[4:5], v[56:57]
	v_fmac_f64_e32 v[4:5], -0.5, v[54:55]
	v_add_f64 v[54:55], v[28:29], -v[56:57]
	v_add_f64 v[58:59], v[36:37], -v[14:15]
	v_add_f64 v[54:55], v[54:55], v[58:59]
	v_fma_f64 v[58:59], s[16:17], v[40:41], v[4:5]
	v_fmac_f64_e32 v[4:5], s[12:13], v[40:41]
	v_fmac_f64_e32 v[58:59], s[4:5], v[12:13]
	;; [unrolled: 1-line block ×3, first 2 shown]
	v_add_f64 v[12:13], v[24:25], v[28:29]
	v_add_f64 v[12:13], v[12:13], v[36:37]
	;; [unrolled: 1-line block ×4, first 2 shown]
	v_fmac_f64_e32 v[58:59], s[14:15], v[54:55]
	v_fmac_f64_e32 v[4:5], s[14:15], v[54:55]
	v_fma_f64 v[54:55], -0.5, v[12:13], v[6:7]
	v_add_f64 v[12:13], v[56:57], -v[14:15]
	v_add_f64 v[14:15], v[28:29], -v[36:37]
	;; [unrolled: 1-line block ×4, first 2 shown]
	v_add_f64 v[24:25], v[24:25], v[28:29]
	v_fma_f64 v[28:29], s[16:17], v[12:13], v[54:55]
	v_fmac_f64_e32 v[54:55], s[12:13], v[12:13]
	v_fmac_f64_e32 v[28:29], s[10:11], v[14:15]
	;; [unrolled: 1-line block ×5, first 2 shown]
	v_add_f64 v[24:25], v[6:7], v[26:27]
	v_add_f64 v[36:37], v[26:27], v[44:45]
	;; [unrolled: 1-line block ×3, first 2 shown]
	v_fmac_f64_e32 v[6:7], -0.5, v[36:37]
	v_add_f64 v[24:25], v[24:25], v[42:43]
	v_add_f64 v[36:37], v[24:25], v[44:45]
	v_add_f64 v[24:25], v[34:35], -v[26:27]
	v_fma_f64 v[26:27], s[12:13], v[14:15], v[6:7]
	v_add_f64 v[34:35], v[42:43], -v[44:45]
	v_fmac_f64_e32 v[26:27], s[10:11], v[12:13]
	v_add_f64 v[24:25], v[24:25], v[34:35]
	v_fmac_f64_e32 v[6:7], s[16:17], v[14:15]
	v_mul_f64 v[42:43], v[30:31], s[10:11]
	v_fmac_f64_e32 v[26:27], s[14:15], v[24:25]
	v_fmac_f64_e32 v[6:7], s[4:5], v[12:13]
	v_add_f64 v[12:13], v[46:47], v[40:41]
	v_mul_f64 v[34:35], v[28:29], s[4:5]
	v_fmac_f64_e32 v[42:43], s[18:19], v[28:29]
	v_add_f64 v[28:29], v[46:47], -v[40:41]
	v_mul_f64 v[46:47], v[58:59], s[16:17]
	v_fmac_f64_e32 v[6:7], s[14:15], v[24:25]
	v_mul_f64 v[44:45], v[26:27], s[12:13]
	v_fmac_f64_e32 v[46:47], s[14:15], v[26:27]
	v_mul_f64 v[26:27], v[4:5], s[14:15]
	v_fma_f64 v[56:57], v[6:7], s[12:13], -v[26:27]
	v_mul_f64 v[6:7], v[6:7], s[14:15]
	v_fmac_f64_e32 v[44:45], s[14:15], v[58:59]
	v_fma_f64 v[58:59], v[4:5], s[16:17], -v[6:7]
	v_mul_f64 v[4:5], v[38:39], s[18:19]
	v_fma_f64 v[62:63], v[54:55], s[4:5], -v[4:5]
	v_mul_f64 v[4:5], v[54:55], s[18:19]
	v_fmac_f64_e32 v[34:35], s[18:19], v[30:31]
	v_add_f64 v[14:15], v[32:33], v[36:37]
	v_fma_f64 v[54:55], v[38:39], s[10:11], -v[4:5]
	v_add_f64 v[24:25], v[10:11], v[34:35]
	v_add_f64 v[30:31], v[32:33], -v[36:37]
	v_add_f64 v[32:33], v[60:61], v[44:45]
	v_add_f64 v[26:27], v[50:51], v[42:43]
	v_add_f64 v[4:5], v[10:11], -v[34:35]
	v_add_f64 v[6:7], v[50:51], -v[42:43]
	v_add_f64 v[36:37], v[0:1], v[56:57]
	v_add_f64 v[34:35], v[52:53], v[46:47]
	v_add_f64 v[40:41], v[60:61], -v[44:45]
	v_add_f64 v[42:43], v[52:53], -v[46:47]
	v_add_f64 v[44:45], v[8:9], v[62:63]
	v_add_f64 v[38:39], v[2:3], v[58:59]
	;; [unrolled: 1-line block ×3, first 2 shown]
	v_add_f64 v[0:1], v[0:1], -v[56:57]
	v_add_f64 v[8:9], v[8:9], -v[62:63]
	;; [unrolled: 1-line block ×4, first 2 shown]
	s_barrier
	ds_write_b128 v21, v[12:15]
	ds_write_b128 v21, v[24:27] offset:640
	ds_write_b128 v21, v[32:35] offset:1280
	;; [unrolled: 1-line block ×9, first 2 shown]
	s_waitcnt lgkmcnt(0)
	s_barrier
	s_and_saveexec_b64 s[4:5], s[0:1]
	s_cbranch_execz .LBB0_22
; %bb.21:
	v_mul_lo_u32 v0, s3, v18
	v_mul_lo_u32 v1, s2, v19
	v_mad_u64_u32 v[4:5], s[0:1], s2, v18, 0
	v_lshl_add_u32 v12, v20, 4, v22
	v_add3_u32 v5, v5, v1, v0
	ds_read_b128 v[0:3], v12
	v_lshl_add_u64 v[4:5], v[4:5], 4, s[6:7]
	v_lshl_add_u64 v[8:9], v[16:17], 4, v[4:5]
	ds_read_b128 v[4:7], v12 offset:640
	v_mov_b32_e32 v21, 0
	v_lshl_add_u64 v[10:11], v[20:21], 4, v[8:9]
	s_waitcnt lgkmcnt(1)
	global_store_dwordx4 v[10:11], v[0:3], off
	s_nop 1
	v_add_u32_e32 v0, 40, v20
	v_mov_b32_e32 v1, v21
	v_lshl_add_u64 v[0:1], v[0:1], 4, v[8:9]
	s_waitcnt lgkmcnt(0)
	global_store_dwordx4 v[0:1], v[4:7], off
	ds_read_b128 v[0:3], v12 offset:1280
	s_nop 0
	v_add_u32_e32 v4, 0x50, v20
	v_mov_b32_e32 v5, v21
	v_lshl_add_u64 v[10:11], v[4:5], 4, v[8:9]
	ds_read_b128 v[4:7], v12 offset:1920
	s_waitcnt lgkmcnt(1)
	global_store_dwordx4 v[10:11], v[0:3], off
	s_nop 1
	v_add_u32_e32 v0, 0x78, v20
	v_mov_b32_e32 v1, v21
	v_lshl_add_u64 v[0:1], v[0:1], 4, v[8:9]
	s_waitcnt lgkmcnt(0)
	global_store_dwordx4 v[0:1], v[4:7], off
	ds_read_b128 v[0:3], v12 offset:2560
	s_nop 0
	v_add_u32_e32 v4, 0xa0, v20
	v_mov_b32_e32 v5, v21
	v_lshl_add_u64 v[10:11], v[4:5], 4, v[8:9]
	ds_read_b128 v[4:7], v12 offset:3200
	;; [unrolled: 14-line block ×3, first 2 shown]
	s_waitcnt lgkmcnt(1)
	global_store_dwordx4 v[10:11], v[0:3], off
	v_add_u32_e32 v10, 0x140, v20
	v_mov_b32_e32 v11, v21
	v_add_u32_e32 v0, 0x118, v20
	v_mov_b32_e32 v1, v21
	v_lshl_add_u64 v[0:1], v[0:1], 4, v[8:9]
	s_waitcnt lgkmcnt(0)
	global_store_dwordx4 v[0:1], v[4:7], off
	ds_read_b128 v[0:3], v12 offset:5120
	ds_read_b128 v[4:7], v12 offset:5760
	v_lshl_add_u64 v[10:11], v[10:11], 4, v[8:9]
	v_add_u32_e32 v20, 0x168, v20
	s_waitcnt lgkmcnt(1)
	global_store_dwordx4 v[10:11], v[0:3], off
	s_nop 1
	v_lshl_add_u64 v[0:1], v[20:21], 4, v[8:9]
	s_waitcnt lgkmcnt(0)
	global_store_dwordx4 v[0:1], v[4:7], off
.LBB0_22:
	s_endpgm
	.section	.rodata,"a",@progbits
	.p2align	6, 0x0
	.amdhsa_kernel fft_rtc_fwd_len400_factors_4_10_10_wgs_120_tpt_40_halfLds_dp_op_CI_CI_unitstride_sbrr_C2R_dirReg
		.amdhsa_group_segment_fixed_size 0
		.amdhsa_private_segment_fixed_size 0
		.amdhsa_kernarg_size 104
		.amdhsa_user_sgpr_count 2
		.amdhsa_user_sgpr_dispatch_ptr 0
		.amdhsa_user_sgpr_queue_ptr 0
		.amdhsa_user_sgpr_kernarg_segment_ptr 1
		.amdhsa_user_sgpr_dispatch_id 0
		.amdhsa_user_sgpr_kernarg_preload_length 0
		.amdhsa_user_sgpr_kernarg_preload_offset 0
		.amdhsa_user_sgpr_private_segment_size 0
		.amdhsa_uses_dynamic_stack 0
		.amdhsa_enable_private_segment 0
		.amdhsa_system_sgpr_workgroup_id_x 1
		.amdhsa_system_sgpr_workgroup_id_y 0
		.amdhsa_system_sgpr_workgroup_id_z 0
		.amdhsa_system_sgpr_workgroup_info 0
		.amdhsa_system_vgpr_workitem_id 0
		.amdhsa_next_free_vgpr 70
		.amdhsa_next_free_sgpr 28
		.amdhsa_accum_offset 72
		.amdhsa_reserve_vcc 1
		.amdhsa_float_round_mode_32 0
		.amdhsa_float_round_mode_16_64 0
		.amdhsa_float_denorm_mode_32 3
		.amdhsa_float_denorm_mode_16_64 3
		.amdhsa_dx10_clamp 1
		.amdhsa_ieee_mode 1
		.amdhsa_fp16_overflow 0
		.amdhsa_tg_split 0
		.amdhsa_exception_fp_ieee_invalid_op 0
		.amdhsa_exception_fp_denorm_src 0
		.amdhsa_exception_fp_ieee_div_zero 0
		.amdhsa_exception_fp_ieee_overflow 0
		.amdhsa_exception_fp_ieee_underflow 0
		.amdhsa_exception_fp_ieee_inexact 0
		.amdhsa_exception_int_div_zero 0
	.end_amdhsa_kernel
	.text
.Lfunc_end0:
	.size	fft_rtc_fwd_len400_factors_4_10_10_wgs_120_tpt_40_halfLds_dp_op_CI_CI_unitstride_sbrr_C2R_dirReg, .Lfunc_end0-fft_rtc_fwd_len400_factors_4_10_10_wgs_120_tpt_40_halfLds_dp_op_CI_CI_unitstride_sbrr_C2R_dirReg
                                        ; -- End function
	.section	.AMDGPU.csdata,"",@progbits
; Kernel info:
; codeLenInByte = 6840
; NumSgprs: 34
; NumVgprs: 70
; NumAgprs: 0
; TotalNumVgprs: 70
; ScratchSize: 0
; MemoryBound: 0
; FloatMode: 240
; IeeeMode: 1
; LDSByteSize: 0 bytes/workgroup (compile time only)
; SGPRBlocks: 4
; VGPRBlocks: 8
; NumSGPRsForWavesPerEU: 34
; NumVGPRsForWavesPerEU: 70
; AccumOffset: 72
; Occupancy: 7
; WaveLimiterHint : 1
; COMPUTE_PGM_RSRC2:SCRATCH_EN: 0
; COMPUTE_PGM_RSRC2:USER_SGPR: 2
; COMPUTE_PGM_RSRC2:TRAP_HANDLER: 0
; COMPUTE_PGM_RSRC2:TGID_X_EN: 1
; COMPUTE_PGM_RSRC2:TGID_Y_EN: 0
; COMPUTE_PGM_RSRC2:TGID_Z_EN: 0
; COMPUTE_PGM_RSRC2:TIDIG_COMP_CNT: 0
; COMPUTE_PGM_RSRC3_GFX90A:ACCUM_OFFSET: 17
; COMPUTE_PGM_RSRC3_GFX90A:TG_SPLIT: 0
	.text
	.p2alignl 6, 3212836864
	.fill 256, 4, 3212836864
	.type	__hip_cuid_dbfd45275fa944eb,@object ; @__hip_cuid_dbfd45275fa944eb
	.section	.bss,"aw",@nobits
	.globl	__hip_cuid_dbfd45275fa944eb
__hip_cuid_dbfd45275fa944eb:
	.byte	0                               ; 0x0
	.size	__hip_cuid_dbfd45275fa944eb, 1

	.ident	"AMD clang version 19.0.0git (https://github.com/RadeonOpenCompute/llvm-project roc-6.4.0 25133 c7fe45cf4b819c5991fe208aaa96edf142730f1d)"
	.section	".note.GNU-stack","",@progbits
	.addrsig
	.addrsig_sym __hip_cuid_dbfd45275fa944eb
	.amdgpu_metadata
---
amdhsa.kernels:
  - .agpr_count:     0
    .args:
      - .actual_access:  read_only
        .address_space:  global
        .offset:         0
        .size:           8
        .value_kind:     global_buffer
      - .offset:         8
        .size:           8
        .value_kind:     by_value
      - .actual_access:  read_only
        .address_space:  global
        .offset:         16
        .size:           8
        .value_kind:     global_buffer
      - .actual_access:  read_only
        .address_space:  global
        .offset:         24
        .size:           8
        .value_kind:     global_buffer
      - .actual_access:  read_only
        .address_space:  global
        .offset:         32
        .size:           8
        .value_kind:     global_buffer
      - .offset:         40
        .size:           8
        .value_kind:     by_value
      - .actual_access:  read_only
        .address_space:  global
        .offset:         48
        .size:           8
        .value_kind:     global_buffer
      - .actual_access:  read_only
        .address_space:  global
        .offset:         56
        .size:           8
        .value_kind:     global_buffer
      - .offset:         64
        .size:           4
        .value_kind:     by_value
      - .actual_access:  read_only
        .address_space:  global
        .offset:         72
        .size:           8
        .value_kind:     global_buffer
      - .actual_access:  read_only
        .address_space:  global
        .offset:         80
        .size:           8
        .value_kind:     global_buffer
      - .actual_access:  read_only
        .address_space:  global
        .offset:         88
        .size:           8
        .value_kind:     global_buffer
      - .actual_access:  write_only
        .address_space:  global
        .offset:         96
        .size:           8
        .value_kind:     global_buffer
    .group_segment_fixed_size: 0
    .kernarg_segment_align: 8
    .kernarg_segment_size: 104
    .language:       OpenCL C
    .language_version:
      - 2
      - 0
    .max_flat_workgroup_size: 120
    .name:           fft_rtc_fwd_len400_factors_4_10_10_wgs_120_tpt_40_halfLds_dp_op_CI_CI_unitstride_sbrr_C2R_dirReg
    .private_segment_fixed_size: 0
    .sgpr_count:     34
    .sgpr_spill_count: 0
    .symbol:         fft_rtc_fwd_len400_factors_4_10_10_wgs_120_tpt_40_halfLds_dp_op_CI_CI_unitstride_sbrr_C2R_dirReg.kd
    .uniform_work_group_size: 1
    .uses_dynamic_stack: false
    .vgpr_count:     70
    .vgpr_spill_count: 0
    .wavefront_size: 64
amdhsa.target:   amdgcn-amd-amdhsa--gfx950
amdhsa.version:
  - 1
  - 2
...

	.end_amdgpu_metadata
